;; amdgpu-corpus repo=ROCm/rocFFT kind=compiled arch=gfx1030 opt=O3
	.text
	.amdgcn_target "amdgcn-amd-amdhsa--gfx1030"
	.amdhsa_code_object_version 6
	.protected	fft_rtc_back_len900_factors_10_10_3_3_wgs_180_tpt_90_halfLds_sp_ip_CI_unitstride_sbrr_dirReg ; -- Begin function fft_rtc_back_len900_factors_10_10_3_3_wgs_180_tpt_90_halfLds_sp_ip_CI_unitstride_sbrr_dirReg
	.globl	fft_rtc_back_len900_factors_10_10_3_3_wgs_180_tpt_90_halfLds_sp_ip_CI_unitstride_sbrr_dirReg
	.p2align	8
	.type	fft_rtc_back_len900_factors_10_10_3_3_wgs_180_tpt_90_halfLds_sp_ip_CI_unitstride_sbrr_dirReg,@function
fft_rtc_back_len900_factors_10_10_3_3_wgs_180_tpt_90_halfLds_sp_ip_CI_unitstride_sbrr_dirReg: ; @fft_rtc_back_len900_factors_10_10_3_3_wgs_180_tpt_90_halfLds_sp_ip_CI_unitstride_sbrr_dirReg
; %bb.0:
	s_clause 0x2
	s_load_dwordx4 s[8:11], s[4:5], 0x0
	s_load_dwordx2 s[2:3], s[4:5], 0x50
	s_load_dwordx2 s[12:13], s[4:5], 0x18
	v_mul_u32_u24_e32 v1, 0x2d9, v0
	v_mov_b32_e32 v3, 0
	v_lshrrev_b32_e32 v24, 16, v1
	v_mov_b32_e32 v1, 0
	v_mov_b32_e32 v6, v3
	v_mov_b32_e32 v2, 0
	v_lshl_add_u32 v5, s6, 1, v24
	s_waitcnt lgkmcnt(0)
	v_cmp_lt_u64_e64 s0, s[10:11], 2
	s_and_b32 vcc_lo, exec_lo, s0
	s_cbranch_vccnz .LBB0_8
; %bb.1:
	s_load_dwordx2 s[0:1], s[4:5], 0x10
	v_mov_b32_e32 v1, 0
	s_add_u32 s6, s12, 8
	v_mov_b32_e32 v2, 0
	s_addc_u32 s7, s13, 0
	s_mov_b64 s[16:17], 1
	s_waitcnt lgkmcnt(0)
	s_add_u32 s14, s0, 8
	s_addc_u32 s15, s1, 0
.LBB0_2:                                ; =>This Inner Loop Header: Depth=1
	s_load_dwordx2 s[18:19], s[14:15], 0x0
                                        ; implicit-def: $vgpr7_vgpr8
	s_mov_b32 s0, exec_lo
	s_waitcnt lgkmcnt(0)
	v_or_b32_e32 v4, s19, v6
	v_cmpx_ne_u64_e32 0, v[3:4]
	s_xor_b32 s1, exec_lo, s0
	s_cbranch_execz .LBB0_4
; %bb.3:                                ;   in Loop: Header=BB0_2 Depth=1
	v_cvt_f32_u32_e32 v4, s18
	v_cvt_f32_u32_e32 v7, s19
	s_sub_u32 s0, 0, s18
	s_subb_u32 s20, 0, s19
	v_fmac_f32_e32 v4, 0x4f800000, v7
	v_rcp_f32_e32 v4, v4
	v_mul_f32_e32 v4, 0x5f7ffffc, v4
	v_mul_f32_e32 v7, 0x2f800000, v4
	v_trunc_f32_e32 v7, v7
	v_fmac_f32_e32 v4, 0xcf800000, v7
	v_cvt_u32_f32_e32 v7, v7
	v_cvt_u32_f32_e32 v4, v4
	v_mul_lo_u32 v8, s0, v7
	v_mul_hi_u32 v9, s0, v4
	v_mul_lo_u32 v10, s20, v4
	v_add_nc_u32_e32 v8, v9, v8
	v_mul_lo_u32 v9, s0, v4
	v_add_nc_u32_e32 v8, v8, v10
	v_mul_hi_u32 v10, v4, v9
	v_mul_lo_u32 v11, v4, v8
	v_mul_hi_u32 v12, v4, v8
	v_mul_hi_u32 v13, v7, v9
	v_mul_lo_u32 v9, v7, v9
	v_mul_hi_u32 v14, v7, v8
	v_mul_lo_u32 v8, v7, v8
	v_add_co_u32 v10, vcc_lo, v10, v11
	v_add_co_ci_u32_e32 v11, vcc_lo, 0, v12, vcc_lo
	v_add_co_u32 v9, vcc_lo, v10, v9
	v_add_co_ci_u32_e32 v9, vcc_lo, v11, v13, vcc_lo
	v_add_co_ci_u32_e32 v10, vcc_lo, 0, v14, vcc_lo
	v_add_co_u32 v8, vcc_lo, v9, v8
	v_add_co_ci_u32_e32 v9, vcc_lo, 0, v10, vcc_lo
	v_add_co_u32 v4, vcc_lo, v4, v8
	v_add_co_ci_u32_e32 v7, vcc_lo, v7, v9, vcc_lo
	v_mul_hi_u32 v8, s0, v4
	v_mul_lo_u32 v10, s20, v4
	v_mul_lo_u32 v9, s0, v7
	v_add_nc_u32_e32 v8, v8, v9
	v_mul_lo_u32 v9, s0, v4
	v_add_nc_u32_e32 v8, v8, v10
	v_mul_hi_u32 v10, v4, v9
	v_mul_lo_u32 v11, v4, v8
	v_mul_hi_u32 v12, v4, v8
	v_mul_hi_u32 v13, v7, v9
	v_mul_lo_u32 v9, v7, v9
	v_mul_hi_u32 v14, v7, v8
	v_mul_lo_u32 v8, v7, v8
	v_add_co_u32 v10, vcc_lo, v10, v11
	v_add_co_ci_u32_e32 v11, vcc_lo, 0, v12, vcc_lo
	v_add_co_u32 v9, vcc_lo, v10, v9
	v_add_co_ci_u32_e32 v9, vcc_lo, v11, v13, vcc_lo
	v_add_co_ci_u32_e32 v10, vcc_lo, 0, v14, vcc_lo
	v_add_co_u32 v8, vcc_lo, v9, v8
	v_add_co_ci_u32_e32 v9, vcc_lo, 0, v10, vcc_lo
	v_add_co_u32 v4, vcc_lo, v4, v8
	v_add_co_ci_u32_e32 v11, vcc_lo, v7, v9, vcc_lo
	v_mul_hi_u32 v13, v5, v4
	v_mad_u64_u32 v[9:10], null, v6, v4, 0
	v_mad_u64_u32 v[7:8], null, v5, v11, 0
	;; [unrolled: 1-line block ×3, first 2 shown]
	v_add_co_u32 v4, vcc_lo, v13, v7
	v_add_co_ci_u32_e32 v7, vcc_lo, 0, v8, vcc_lo
	v_add_co_u32 v4, vcc_lo, v4, v9
	v_add_co_ci_u32_e32 v4, vcc_lo, v7, v10, vcc_lo
	v_add_co_ci_u32_e32 v7, vcc_lo, 0, v12, vcc_lo
	v_add_co_u32 v4, vcc_lo, v4, v11
	v_add_co_ci_u32_e32 v9, vcc_lo, 0, v7, vcc_lo
	v_mul_lo_u32 v10, s19, v4
	v_mad_u64_u32 v[7:8], null, s18, v4, 0
	v_mul_lo_u32 v11, s18, v9
	v_sub_co_u32 v7, vcc_lo, v5, v7
	v_add3_u32 v8, v8, v11, v10
	v_sub_nc_u32_e32 v10, v6, v8
	v_subrev_co_ci_u32_e64 v10, s0, s19, v10, vcc_lo
	v_add_co_u32 v11, s0, v4, 2
	v_add_co_ci_u32_e64 v12, s0, 0, v9, s0
	v_sub_co_u32 v13, s0, v7, s18
	v_sub_co_ci_u32_e32 v8, vcc_lo, v6, v8, vcc_lo
	v_subrev_co_ci_u32_e64 v10, s0, 0, v10, s0
	v_cmp_le_u32_e32 vcc_lo, s18, v13
	v_cmp_eq_u32_e64 s0, s19, v8
	v_cndmask_b32_e64 v13, 0, -1, vcc_lo
	v_cmp_le_u32_e32 vcc_lo, s19, v10
	v_cndmask_b32_e64 v14, 0, -1, vcc_lo
	v_cmp_le_u32_e32 vcc_lo, s18, v7
	;; [unrolled: 2-line block ×3, first 2 shown]
	v_cndmask_b32_e64 v15, 0, -1, vcc_lo
	v_cmp_eq_u32_e32 vcc_lo, s19, v10
	v_cndmask_b32_e64 v7, v15, v7, s0
	v_cndmask_b32_e32 v10, v14, v13, vcc_lo
	v_add_co_u32 v13, vcc_lo, v4, 1
	v_add_co_ci_u32_e32 v14, vcc_lo, 0, v9, vcc_lo
	v_cmp_ne_u32_e32 vcc_lo, 0, v10
	v_cndmask_b32_e32 v8, v14, v12, vcc_lo
	v_cndmask_b32_e32 v10, v13, v11, vcc_lo
	v_cmp_ne_u32_e32 vcc_lo, 0, v7
	v_cndmask_b32_e32 v8, v9, v8, vcc_lo
	v_cndmask_b32_e32 v7, v4, v10, vcc_lo
.LBB0_4:                                ;   in Loop: Header=BB0_2 Depth=1
	s_andn2_saveexec_b32 s0, s1
	s_cbranch_execz .LBB0_6
; %bb.5:                                ;   in Loop: Header=BB0_2 Depth=1
	v_cvt_f32_u32_e32 v4, s18
	s_sub_i32 s1, 0, s18
	v_rcp_iflag_f32_e32 v4, v4
	v_mul_f32_e32 v4, 0x4f7ffffe, v4
	v_cvt_u32_f32_e32 v4, v4
	v_mul_lo_u32 v7, s1, v4
	v_mul_hi_u32 v7, v4, v7
	v_add_nc_u32_e32 v4, v4, v7
	v_mul_hi_u32 v4, v5, v4
	v_mul_lo_u32 v7, v4, s18
	v_add_nc_u32_e32 v8, 1, v4
	v_sub_nc_u32_e32 v7, v5, v7
	v_subrev_nc_u32_e32 v9, s18, v7
	v_cmp_le_u32_e32 vcc_lo, s18, v7
	v_cndmask_b32_e32 v7, v7, v9, vcc_lo
	v_cndmask_b32_e32 v4, v4, v8, vcc_lo
	v_cmp_le_u32_e32 vcc_lo, s18, v7
	v_add_nc_u32_e32 v8, 1, v4
	v_cndmask_b32_e32 v7, v4, v8, vcc_lo
	v_mov_b32_e32 v8, v3
.LBB0_6:                                ;   in Loop: Header=BB0_2 Depth=1
	s_or_b32 exec_lo, exec_lo, s0
	s_load_dwordx2 s[0:1], s[6:7], 0x0
	v_mul_lo_u32 v4, v8, s18
	v_mul_lo_u32 v11, v7, s19
	v_mad_u64_u32 v[9:10], null, v7, s18, 0
	s_add_u32 s16, s16, 1
	s_addc_u32 s17, s17, 0
	s_add_u32 s6, s6, 8
	s_addc_u32 s7, s7, 0
	;; [unrolled: 2-line block ×3, first 2 shown]
	v_add3_u32 v4, v10, v11, v4
	v_sub_co_u32 v5, vcc_lo, v5, v9
	v_sub_co_ci_u32_e32 v4, vcc_lo, v6, v4, vcc_lo
	s_waitcnt lgkmcnt(0)
	v_mul_lo_u32 v6, s1, v5
	v_mul_lo_u32 v4, s0, v4
	v_mad_u64_u32 v[1:2], null, s0, v5, v[1:2]
	v_cmp_ge_u64_e64 s0, s[16:17], s[10:11]
	s_and_b32 vcc_lo, exec_lo, s0
	v_add3_u32 v2, v6, v2, v4
	s_cbranch_vccnz .LBB0_9
; %bb.7:                                ;   in Loop: Header=BB0_2 Depth=1
	v_mov_b32_e32 v5, v7
	v_mov_b32_e32 v6, v8
	s_branch .LBB0_2
.LBB0_8:
	v_mov_b32_e32 v8, v6
	v_mov_b32_e32 v7, v5
.LBB0_9:
	s_lshl_b64 s[0:1], s[10:11], 3
	v_mul_hi_u32 v5, 0x2d82d83, v0
	s_add_u32 s0, s12, s0
	s_addc_u32 s1, s13, s1
                                        ; implicit-def: $vgpr9
                                        ; implicit-def: $vgpr19
                                        ; implicit-def: $vgpr11
                                        ; implicit-def: $vgpr21
                                        ; implicit-def: $vgpr13
                                        ; implicit-def: $vgpr23
                                        ; implicit-def: $vgpr15
                                        ; implicit-def: $vgpr17
	s_load_dwordx2 s[0:1], s[0:1], 0x0
	s_load_dwordx2 s[4:5], s[4:5], 0x20
	s_waitcnt lgkmcnt(0)
	v_mul_lo_u32 v3, s0, v8
	v_mul_lo_u32 v4, s1, v7
	v_mad_u64_u32 v[1:2], null, s0, v7, v[1:2]
	v_cmp_gt_u64_e32 vcc_lo, s[4:5], v[7:8]
                                        ; implicit-def: $vgpr7
	v_add3_u32 v2, v4, v2, v3
	v_mul_u32_u24_e32 v4, 0x5a, v5
                                        ; implicit-def: $vgpr5
	v_lshlrev_b64 v[2:3], 3, v[1:2]
	v_sub_nc_u32_e32 v0, v0, v4
	s_and_saveexec_b32 s1, vcc_lo
	s_cbranch_execz .LBB0_11
; %bb.10:
	v_mov_b32_e32 v1, 0
	v_lshlrev_b64 v[4:5], 3, v[0:1]
	v_add_co_u32 v1, s0, s2, v2
	v_add_co_ci_u32_e64 v6, s0, s3, v3, s0
	v_add_co_u32 v8, s0, v1, v4
	v_add_co_ci_u32_e64 v9, s0, v6, v5, s0
	;; [unrolled: 2-line block ×4, first 2 shown]
	s_clause 0x3
	global_load_dwordx2 v[4:5], v[8:9], off
	global_load_dwordx2 v[6:7], v[8:9], off offset:720
	global_load_dwordx2 v[16:17], v[8:9], off offset:1440
	global_load_dwordx2 v[14:15], v[10:11], off offset:112
	v_add_co_u32 v8, s0, 0x1800, v8
	v_add_co_ci_u32_e64 v9, s0, 0, v9, s0
	s_clause 0x5
	global_load_dwordx2 v[22:23], v[10:11], off offset:832
	global_load_dwordx2 v[12:13], v[10:11], off offset:1552
	;; [unrolled: 1-line block ×6, first 2 shown]
.LBB0_11:
	s_or_b32 exec_lo, exec_lo, s1
	s_waitcnt vmcnt(3)
	v_add_f32_e32 v1, v20, v22
	v_add_f32_e32 v25, v16, v4
	s_waitcnt vmcnt(1)
	v_sub_f32_e32 v26, v17, v19
	v_add_f32_e32 v30, v18, v16
	v_sub_f32_e32 v27, v23, v21
	v_fma_f32 v28, -0.5, v1, v4
	v_sub_f32_e32 v1, v16, v22
	v_sub_f32_e32 v29, v18, v20
	v_add_f32_e32 v25, v22, v25
	v_fmac_f32_e32 v4, -0.5, v30
	v_fmamk_f32 v31, v26, 0xbf737871, v28
	v_fmac_f32_e32 v28, 0x3f737871, v26
	v_add_f32_e32 v33, v17, v5
	v_add_f32_e32 v1, v29, v1
	;; [unrolled: 1-line block ×3, first 2 shown]
	v_fmac_f32_e32 v31, 0xbf167918, v27
	v_fmamk_f32 v29, v27, 0x3f737871, v4
	v_sub_f32_e32 v30, v22, v16
	v_sub_f32_e32 v32, v20, v18
	v_fmac_f32_e32 v28, 0x3f167918, v27
	v_add_f32_e32 v34, v21, v23
	v_fmac_f32_e32 v4, 0xbf737871, v27
	v_add_f32_e32 v27, v23, v33
	v_add_f32_e32 v25, v18, v25
	v_fmac_f32_e32 v31, 0x3e9e377a, v1
	v_fmac_f32_e32 v29, 0xbf167918, v26
	v_add_f32_e32 v30, v32, v30
	v_fma_f32 v32, -0.5, v34, v5
	v_sub_f32_e32 v16, v16, v18
	v_fmac_f32_e32 v28, 0x3e9e377a, v1
	v_fmac_f32_e32 v4, 0x3f167918, v26
	v_add_f32_e32 v1, v21, v27
	v_add_f32_e32 v18, v19, v17
	v_fmac_f32_e32 v29, 0x3e9e377a, v30
	v_fmamk_f32 v26, v16, 0x3f737871, v32
	v_sub_f32_e32 v20, v22, v20
	v_sub_f32_e32 v22, v17, v23
	;; [unrolled: 1-line block ×3, first 2 shown]
	v_fmac_f32_e32 v4, 0x3e9e377a, v30
	v_fmac_f32_e32 v5, -0.5, v18
	v_add_f32_e32 v30, v19, v1
	v_fmac_f32_e32 v32, 0xbf737871, v16
	v_sub_f32_e32 v17, v23, v17
	v_sub_f32_e32 v18, v21, v19
	v_add_f32_e32 v19, v14, v6
	v_fmac_f32_e32 v26, 0x3f167918, v20
	v_add_f32_e32 v1, v27, v22
	v_fmamk_f32 v22, v20, 0xbf737871, v5
	v_fmac_f32_e32 v32, 0xbf167918, v20
	v_add_f32_e32 v17, v18, v17
	v_fmac_f32_e32 v5, 0x3f737871, v20
	v_add_f32_e32 v18, v12, v19
	v_add_f32_e32 v19, v10, v12
	v_fmac_f32_e32 v26, 0x3e9e377a, v1
	v_fmac_f32_e32 v22, 0x3f167918, v16
	v_fmac_f32_e32 v32, 0x3e9e377a, v1
	v_fmac_f32_e32 v5, 0xbf167918, v16
	v_add_f32_e32 v1, v10, v18
	v_fma_f32 v16, -0.5, v19, v6
	s_waitcnt vmcnt(0)
	v_add_f32_e32 v18, v8, v14
	v_sub_f32_e32 v19, v15, v9
	v_fmac_f32_e32 v22, 0x3e9e377a, v17
	v_fmac_f32_e32 v5, 0x3e9e377a, v17
	v_add_f32_e32 v20, v8, v1
	v_sub_f32_e32 v1, v13, v11
	v_fmac_f32_e32 v6, -0.5, v18
	v_fmamk_f32 v17, v19, 0xbf737871, v16
	v_sub_f32_e32 v18, v14, v12
	v_sub_f32_e32 v21, v8, v10
	v_fmac_f32_e32 v16, 0x3f737871, v19
	v_fmamk_f32 v23, v1, 0x3f737871, v6
	v_fmac_f32_e32 v17, 0xbf167918, v1
	v_sub_f32_e32 v27, v12, v14
	v_add_f32_e32 v18, v21, v18
	v_fmac_f32_e32 v16, 0x3f167918, v1
	v_sub_f32_e32 v33, v10, v8
	v_fmac_f32_e32 v6, 0xbf737871, v1
	v_add_f32_e32 v1, v11, v13
	v_fmac_f32_e32 v17, 0x3e9e377a, v18
	v_fmac_f32_e32 v16, 0x3e9e377a, v18
	v_add_f32_e32 v18, v9, v15
	v_fmac_f32_e32 v23, 0xbf167918, v19
	v_add_f32_e32 v21, v33, v27
	v_fmac_f32_e32 v6, 0x3f167918, v19
	v_fma_f32 v1, -0.5, v1, v7
	v_sub_f32_e32 v8, v14, v8
	v_add_f32_e32 v14, v15, v7
	v_sub_f32_e32 v10, v12, v10
	v_fmac_f32_e32 v7, -0.5, v18
	v_fmac_f32_e32 v23, 0x3e9e377a, v21
	v_fmac_f32_e32 v6, 0x3e9e377a, v21
	v_sub_f32_e32 v12, v15, v13
	v_sub_f32_e32 v15, v13, v15
	v_fmamk_f32 v21, v10, 0xbf737871, v7
	v_sub_f32_e32 v27, v11, v9
	v_and_b32_e32 v24, 1, v24
	v_fmamk_f32 v18, v8, 0x3f737871, v1
	v_sub_f32_e32 v19, v9, v11
	v_fmac_f32_e32 v7, 0x3f737871, v10
	v_fmac_f32_e32 v21, 0x3f167918, v8
	v_add_f32_e32 v15, v27, v15
	v_fmac_f32_e32 v1, 0xbf737871, v8
	v_cmp_eq_u32_e64 s0, 1, v24
	v_fmac_f32_e32 v18, 0x3f167918, v10
	v_add_f32_e32 v12, v19, v12
	v_fmac_f32_e32 v7, 0xbf167918, v8
	v_fmac_f32_e32 v21, 0x3e9e377a, v15
	;; [unrolled: 1-line block ×3, first 2 shown]
	v_cndmask_b32_e64 v24, 0, 0x384, s0
	v_fmac_f32_e32 v18, 0x3e9e377a, v12
	v_fmac_f32_e32 v7, 0x3e9e377a, v15
	v_mul_f32_e32 v27, 0xbf737871, v21
	v_fmac_f32_e32 v1, 0x3e9e377a, v12
	v_add_f32_e32 v8, v13, v14
	v_mul_f32_e32 v19, 0xbf167918, v18
	v_mul_f32_e32 v33, 0xbf737871, v7
	v_fmac_f32_e32 v27, 0x3e9e377a, v23
	v_mul_f32_e32 v35, 0xbf167918, v1
	v_mul_f32_e32 v36, 0x3f167918, v17
	;; [unrolled: 1-line block ×4, first 2 shown]
	v_lshlrev_b32_e32 v1, 2, v24
	v_add_f32_e32 v8, v11, v8
	v_fmac_f32_e32 v19, 0x3f4f1bbd, v17
	v_fmac_f32_e32 v33, 0xbe9e377a, v6
	v_add_f32_e32 v10, v29, v27
	v_fmac_f32_e32 v35, 0xbf4f1bbd, v16
	v_mul_f32_e32 v37, 0xbe9e377a, v7
	v_fmac_f32_e32 v36, 0x3f4f1bbd, v18
	v_fmac_f32_e32 v23, 0x3e9e377a, v21
	v_sub_f32_e32 v7, v29, v27
	v_mul_u32_u24_e32 v24, 10, v0
	v_add_nc_u32_e32 v27, 0, v1
	v_add_f32_e32 v34, v9, v8
	v_add_f32_e32 v8, v20, v25
	;; [unrolled: 1-line block ×5, first 2 shown]
	v_fmac_f32_e32 v38, 0x3f167918, v16
	v_add_f32_e32 v15, v26, v36
	v_add_f32_e32 v16, v22, v23
	v_sub_f32_e32 v13, v25, v20
	v_sub_f32_e32 v21, v28, v35
	v_sub_f32_e32 v25, v26, v36
	v_lshl_add_u32 v28, v24, 2, v27
	v_sub_f32_e32 v26, v22, v23
	v_and_b32_e32 v22, 0xff, v0
	v_fmac_f32_e32 v37, 0x3f737871, v6
	v_sub_f32_e32 v6, v31, v19
	ds_write2_b64 v28, v[8:9], v[10:11] offset1:1
	ds_write2_b64 v28, v[12:13], v[6:7] offset0:2 offset1:3
	v_mul_lo_u16 v6, 0xcd, v22
	v_mad_i32_i24 v24, 0xffffffdc, v0, v28
	v_add_f32_e32 v14, v34, v30
	v_add_f32_e32 v17, v5, v37
	v_sub_f32_e32 v20, v4, v33
	v_lshrrev_b16 v23, 11, v6
	v_lshl_add_u32 v22, v0, 2, v27
	v_add_nc_u32_e32 v6, 0x400, v24
	v_add_nc_u32_e32 v27, 0x800, v24
	v_add_f32_e32 v18, v32, v38
	v_mul_lo_u16 v8, v23, 10
	v_sub_f32_e32 v19, v30, v34
	v_add_nc_u32_e32 v7, 0x600, v24
	v_sub_f32_e32 v4, v5, v37
	v_sub_f32_e32 v5, v32, v38
	v_sub_nc_u16 v36, v0, v8
	v_mov_b32_e32 v8, 9
	ds_write_b64 v28, v[20:21] offset:32
	s_waitcnt lgkmcnt(0)
	s_barrier
	buffer_gl0_inv
	v_mul_u32_u24_sdwa v8, v36, v8 dst_sel:DWORD dst_unused:UNUSED_PAD src0_sel:BYTE_0 src1_sel:DWORD
	ds_read2_b32 v[12:13], v24 offset0:90 offset1:180
	ds_read2_b32 v[20:21], v6 offset0:14 offset1:104
	;; [unrolled: 1-line block ×4, first 2 shown]
	ds_read_b32 v54, v22
	ds_read_b32 v55, v24 offset:3240
	s_waitcnt lgkmcnt(0)
	s_barrier
	buffer_gl0_inv
	ds_write2_b64 v28, v[14:15], v[16:17] offset1:1
	ds_write2_b64 v28, v[18:19], v[25:26] offset0:2 offset1:3
	v_lshlrev_b32_e32 v14, 3, v8
	ds_write_b64 v28, v[4:5] offset:32
	s_waitcnt lgkmcnt(0)
	s_barrier
	buffer_gl0_inv
	s_clause 0x4
	global_load_dwordx4 v[8:11], v14, s[8:9]
	global_load_dwordx4 v[28:31], v14, s[8:9] offset:16
	global_load_dwordx4 v[32:35], v14, s[8:9] offset:32
	;; [unrolled: 1-line block ×3, first 2 shown]
	global_load_dwordx2 v[4:5], v14, s[8:9] offset:64
	v_and_b32_e32 v14, 0xffff, v23
	v_mov_b32_e32 v15, 2
	ds_read2_b32 v[46:47], v24 offset0:90 offset1:180
	ds_read2_b32 v[48:49], v6 offset0:14 offset1:104
	;; [unrolled: 1-line block ×4, first 2 shown]
	v_mad_u32_u24 v14, 0x190, v14, 0
	v_lshlrev_b32_sdwa v15, v15, v36 dst_sel:DWORD dst_unused:UNUSED_PAD src0_sel:DWORD src1_sel:BYTE_0
	v_add_nc_u32_e32 v18, 0xa00, v24
	v_cmp_gt_u32_e64 s0, 30, v0
	v_add3_u32 v14, v14, v15, v1
	ds_read_b32 v15, v22
	ds_read_b32 v17, v24 offset:3240
	s_waitcnt vmcnt(0) lgkmcnt(0)
	s_barrier
	buffer_gl0_inv
	v_mul_f32_e32 v16, v46, v9
	v_mul_f32_e32 v9, v12, v9
	;; [unrolled: 1-line block ×10, first 2 shown]
	v_fmac_f32_e32 v16, v12, v8
	v_mul_f32_e32 v12, v44, v38
	v_mul_f32_e32 v41, v53, v40
	v_fma_f32 v19, v46, v8, -v9
	v_mul_f32_e32 v9, v17, v5
	v_mul_f32_e32 v5, v55, v5
	;; [unrolled: 1-line block ×4, first 2 shown]
	v_fmac_f32_e32 v36, v13, v10
	v_fmac_f32_e32 v27, v20, v28
	;; [unrolled: 1-line block ×4, first 2 shown]
	v_fma_f32 v21, v50, v32, -v33
	v_fmac_f32_e32 v29, v43, v34
	v_fmac_f32_e32 v57, v44, v37
	v_fma_f32 v20, v52, v37, -v12
	v_fmac_f32_e32 v41, v45, v39
	v_fmac_f32_e32 v9, v55, v4
	v_fma_f32 v23, v48, v28, -v23
	v_fma_f32 v17, v17, v4, -v5
	v_mul_f32_e32 v35, v43, v35
	v_fma_f32 v25, v47, v10, -v11
	v_mul_f32_e32 v8, v45, v40
	v_fma_f32 v30, v49, v30, -v31
	v_sub_f32_e32 v11, v36, v26
	v_sub_f32_e32 v12, v41, v29
	;; [unrolled: 1-line block ×6, first 2 shown]
	v_add_f32_e32 v43, v21, v20
	v_add_f32_e32 v49, v23, v17
	v_fma_f32 v33, v51, v34, -v35
	v_fma_f32 v35, v53, v39, -v8
	v_add_f32_e32 v32, v16, v27
	v_add_f32_e32 v34, v56, v57
	;; [unrolled: 1-line block ×3, first 2 shown]
	v_sub_f32_e32 v40, v56, v27
	v_sub_f32_e32 v27, v27, v9
	v_add_f32_e32 v11, v11, v12
	v_add_f32_e32 v12, v28, v31
	;; [unrolled: 1-line block ×3, first 2 shown]
	v_fma_f32 v37, -0.5, v43, v19
	v_add_f32_e32 v5, v26, v29
	v_sub_f32_e32 v42, v57, v9
	v_sub_f32_e32 v46, v56, v57
	v_fma_f32 v38, -0.5, v49, v19
	v_add_f32_e32 v13, v36, v41
	v_sub_f32_e32 v44, v23, v17
	v_sub_f32_e32 v47, v23, v21
	;; [unrolled: 1-line block ×3, first 2 shown]
	v_fma_f32 v34, -0.5, v34, v16
	v_fmamk_f32 v43, v27, 0x3f737871, v37
	v_sub_f32_e32 v8, v25, v35
	v_sub_f32_e32 v45, v21, v20
	;; [unrolled: 1-line block ×4, first 2 shown]
	v_fma_f32 v5, -0.5, v5, v54
	v_fmac_f32_e32 v16, -0.5, v39
	v_add_f32_e32 v31, v40, v42
	v_fmamk_f32 v42, v46, 0xbf737871, v38
	v_fmac_f32_e32 v38, 0x3f737871, v46
	v_add_f32_e32 v4, v54, v36
	v_sub_f32_e32 v10, v30, v33
	v_fmac_f32_e32 v54, -0.5, v13
	v_fmac_f32_e32 v37, 0xbf737871, v27
	v_add_f32_e32 v13, v32, v56
	v_add_f32_e32 v32, v47, v48
	v_fmamk_f32 v39, v44, 0xbf737871, v34
	v_fmac_f32_e32 v43, 0x3f167918, v46
	v_add_f32_e32 v47, v50, v51
	v_fmamk_f32 v48, v8, 0xbf737871, v5
	v_fmac_f32_e32 v5, 0x3f737871, v8
	v_fmamk_f32 v40, v45, 0x3f737871, v16
	v_fmac_f32_e32 v16, 0xbf737871, v45
	v_fmac_f32_e32 v42, 0x3f167918, v27
	;; [unrolled: 1-line block ×3, first 2 shown]
	v_fmamk_f32 v49, v10, 0x3f737871, v54
	v_fmac_f32_e32 v54, 0xbf737871, v10
	v_fmac_f32_e32 v34, 0x3f737871, v44
	;; [unrolled: 1-line block ×3, first 2 shown]
	v_add_f32_e32 v4, v4, v26
	v_add_f32_e32 v13, v13, v57
	v_fmac_f32_e32 v39, 0xbf167918, v45
	v_fmac_f32_e32 v43, 0x3e9e377a, v32
	;; [unrolled: 1-line block ×12, first 2 shown]
	v_add_f32_e32 v4, v4, v29
	v_add_f32_e32 v8, v13, v9
	v_fmac_f32_e32 v39, 0x3e9e377a, v28
	v_mul_f32_e32 v9, 0xbf167918, v43
	v_fmac_f32_e32 v48, 0x3e9e377a, v11
	v_fmac_f32_e32 v5, 0x3e9e377a, v11
	;; [unrolled: 1-line block ×4, first 2 shown]
	v_mul_f32_e32 v10, 0xbf737871, v42
	v_mul_f32_e32 v11, 0xbf737871, v38
	v_fmac_f32_e32 v49, 0x3e9e377a, v12
	v_fmac_f32_e32 v54, 0x3e9e377a, v12
	;; [unrolled: 1-line block ×3, first 2 shown]
	v_mul_f32_e32 v12, 0xbf167918, v37
	v_add_f32_e32 v4, v4, v41
	v_fmac_f32_e32 v9, 0x3f4f1bbd, v39
	v_fmac_f32_e32 v10, 0x3e9e377a, v40
	;; [unrolled: 1-line block ×4, first 2 shown]
	v_add_f32_e32 v13, v4, v8
	v_sub_f32_e32 v4, v4, v8
	v_add_f32_e32 v8, v48, v9
	v_add_f32_e32 v27, v49, v10
	v_add_f32_e32 v31, v54, v11
	v_add_f32_e32 v32, v5, v12
	v_sub_f32_e32 v9, v48, v9
	v_sub_f32_e32 v10, v49, v10
	;; [unrolled: 1-line block ×4, first 2 shown]
	ds_write2_b32 v14, v13, v8 offset1:10
	ds_write2_b32 v14, v27, v31 offset0:20 offset1:30
	ds_write2_b32 v14, v32, v4 offset0:40 offset1:50
	;; [unrolled: 1-line block ×4, first 2 shown]
	s_waitcnt lgkmcnt(0)
	s_barrier
	buffer_gl0_inv
	ds_read_b32 v27, v22
	ds_read2_b32 v[12:13], v6 offset0:44 offset1:134
	ds_read2_b32 v[8:9], v7 offset0:96 offset1:216
	;; [unrolled: 1-line block ×4, first 2 shown]
                                        ; implicit-def: $vgpr31
                                        ; implicit-def: $vgpr32
	s_and_saveexec_b32 s1, s0
	s_cbranch_execz .LBB0_13
; %bb.12:
	ds_read_b32 v28, v24 offset:1080
	ds_read_b32 v32, v24 offset:2280
	ds_read_b32 v31, v24 offset:3480
.LBB0_13:
	s_or_b32 exec_lo, exec_lo, s1
	v_add_f32_e32 v45, v30, v33
	v_add_f32_e32 v46, v25, v35
	v_add_f32_e32 v44, v15, v25
	v_sub_f32_e32 v26, v26, v29
	v_sub_f32_e32 v36, v36, v41
	v_fma_f32 v45, -0.5, v45, v15
	v_fmac_f32_e32 v15, -0.5, v46
	v_add_f32_e32 v44, v44, v30
	v_add_f32_e32 v19, v19, v23
	v_sub_f32_e32 v41, v25, v30
	v_sub_f32_e32 v25, v30, v25
	v_fmamk_f32 v46, v26, 0xbf737871, v15
	v_sub_f32_e32 v30, v33, v35
	v_fmac_f32_e32 v15, 0x3f737871, v26
	v_sub_f32_e32 v47, v35, v33
	v_add_f32_e32 v29, v44, v33
	v_fmamk_f32 v44, v36, 0x3f737871, v45
	v_add_f32_e32 v19, v19, v21
	v_fmac_f32_e32 v46, 0x3f167918, v36
	v_add_f32_e32 v23, v25, v30
	v_fmac_f32_e32 v15, 0xbf167918, v36
	v_fmac_f32_e32 v45, 0xbf737871, v36
	v_add_f32_e32 v41, v41, v47
	v_fmac_f32_e32 v44, 0x3f167918, v26
	v_add_f32_e32 v19, v19, v20
	v_mul_f32_e32 v20, 0x3f4f1bbd, v43
	v_fmac_f32_e32 v46, 0x3e9e377a, v23
	v_fmac_f32_e32 v15, 0x3e9e377a, v23
	v_mul_f32_e32 v21, 0x3e9e377a, v42
	v_mul_f32_e32 v23, 0x3e9e377a, v38
	v_fmac_f32_e32 v45, 0xbf167918, v26
	v_mul_f32_e32 v25, 0x3f4f1bbd, v37
	v_add_f32_e32 v29, v29, v35
	v_fmac_f32_e32 v44, 0x3e9e377a, v41
	v_add_f32_e32 v17, v19, v17
	v_fmac_f32_e32 v20, 0x3f167918, v39
	v_fmac_f32_e32 v21, 0x3f737871, v40
	v_fma_f32 v16, 0x3f737871, v16, -v23
	v_fmac_f32_e32 v45, 0x3e9e377a, v41
	v_fma_f32 v19, 0x3f167918, v34, -v25
	v_add_f32_e32 v23, v29, v17
	v_add_f32_e32 v25, v44, v20
	;; [unrolled: 1-line block ×5, first 2 shown]
	v_sub_f32_e32 v17, v29, v17
	v_sub_f32_e32 v20, v44, v20
	;; [unrolled: 1-line block ×5, first 2 shown]
	s_waitcnt lgkmcnt(0)
	s_barrier
	buffer_gl0_inv
	ds_write2_b32 v14, v23, v25 offset1:10
	ds_write2_b32 v14, v26, v30 offset0:20 offset1:30
	ds_write2_b32 v14, v33, v17 offset0:40 offset1:50
	;; [unrolled: 1-line block ×4, first 2 shown]
	s_waitcnt lgkmcnt(0)
	s_barrier
	buffer_gl0_inv
	ds_read_b32 v23, v22
	ds_read2_b32 v[20:21], v6 offset0:44 offset1:134
	ds_read2_b32 v[14:15], v7 offset0:96 offset1:216
	;; [unrolled: 1-line block ×4, first 2 shown]
                                        ; implicit-def: $vgpr33
                                        ; implicit-def: $vgpr35
	s_and_saveexec_b32 s1, s0
	s_cbranch_execz .LBB0_15
; %bb.14:
	ds_read_b32 v29, v24 offset:1080
	ds_read_b32 v35, v24 offset:2280
	;; [unrolled: 1-line block ×3, first 2 shown]
.LBB0_15:
	s_or_b32 exec_lo, exec_lo, s1
	v_add_nc_u32_e32 v25, 0xb4, v0
	v_add_nc_u32_e32 v26, 0x5a, v0
	v_add_nc_u32_e32 v6, -10, v0
	v_cmp_gt_u32_e64 s1, 10, v0
	v_add_nc_u32_e32 v30, 0x10e, v0
	v_lshrrev_b16 v34, 2, v25
	v_mov_b32_e32 v39, 0x147b
	v_lshlrev_b32_e32 v36, 1, v0
	v_mov_b32_e32 v37, 0
	v_cndmask_b32_e64 v38, v6, v26, s1
	v_lshrrev_b16 v40, 2, v30
	v_mul_u32_u24_sdwa v34, v34, v39 dst_sel:DWORD dst_unused:UNUSED_PAD src0_sel:WORD_0 src1_sel:DWORD
	v_mov_b32_e32 v48, 2
	v_lshlrev_b64 v[6:7], 3, v[36:37]
	v_lshlrev_b32_e32 v36, 1, v38
	v_lshlrev_b32_e32 v38, 2, v38
	v_lshrrev_b32_e32 v41, 17, v34
	v_mul_u32_u24_sdwa v34, v40, v39 dst_sel:DWORD dst_unused:UNUSED_PAD src0_sel:WORD_0 src1_sel:DWORD
	v_lshlrev_b64 v[36:37], 3, v[36:37]
	v_add_co_u32 v6, s1, s8, v6
	v_add_co_ci_u32_e64 v7, s1, s9, v7, s1
	v_lshrrev_b32_e32 v34, 17, v34
	v_add_co_u32 v36, s1, s8, v36
	global_load_dwordx4 v[42:45], v[6:7], off offset:720
	v_add_co_ci_u32_e64 v37, s1, s9, v37, s1
	v_mul_lo_u16 v39, 0x64, v41
	v_mul_lo_u16 v34, 0x64, v34
	v_cmp_lt_u32_e64 s1, 9, v0
	global_load_dwordx4 v[49:52], v[36:37], off offset:720
	v_mov_b32_e32 v36, 4
	v_sub_nc_u16 v37, v25, v39
	v_sub_nc_u16 v34, v30, v34
	v_lshlrev_b32_sdwa v39, v36, v37 dst_sel:DWORD dst_unused:UNUSED_PAD src0_sel:DWORD src1_sel:WORD_0
	v_lshlrev_b32_sdwa v36, v36, v34 dst_sel:DWORD dst_unused:UNUSED_PAD src0_sel:DWORD src1_sel:WORD_0
	s_clause 0x1
	global_load_dwordx4 v[53:56], v39, s[8:9] offset:720
	global_load_dwordx4 v[57:60], v36, s[8:9] offset:720
	v_cndmask_b32_e64 v36, 0, 0x4b0, s1
	v_lshlrev_b32_sdwa v37, v48, v37 dst_sel:DWORD dst_unused:UNUSED_PAD src0_sel:DWORD src1_sel:WORD_0
	s_waitcnt vmcnt(0) lgkmcnt(0)
	s_barrier
	buffer_gl0_inv
	v_add_nc_u32_e32 v36, 0, v36
	v_add3_u32 v36, v36, v38, v1
	v_mad_u32_u24 v38, 0x4b0, v41, 0
	v_add3_u32 v37, v38, v37, v1
	v_mul_f32_e32 v41, v20, v43
	v_mul_f32_e32 v39, v12, v43
	;; [unrolled: 1-line block ×4, first 2 shown]
	v_fmac_f32_e32 v41, v12, v42
	v_fma_f32 v46, v20, v42, -v39
	v_fmac_f32_e32 v43, v9, v44
	v_fma_f32 v39, v15, v44, -v40
	v_mul_f32_e32 v9, v13, v50
	v_mul_f32_e32 v12, v10, v52
	;; [unrolled: 1-line block ×3, first 2 shown]
	v_add_f32_e32 v20, v41, v43
	v_mul_f32_e32 v42, v18, v52
	v_add_f32_e32 v15, v27, v41
	v_sub_f32_e32 v44, v46, v39
	v_fma_f32 v47, v21, v49, -v9
	v_fmac_f32_e32 v27, -0.5, v20
	v_mul_f32_e32 v20, v35, v58
	v_mul_f32_e32 v38, v33, v60
	v_fma_f32 v45, v18, v51, -v12
	v_mul_f32_e32 v18, v14, v54
	v_mul_f32_e32 v21, v19, v56
	v_fmac_f32_e32 v40, v13, v49
	v_fmac_f32_e32 v42, v10, v51
	v_add_f32_e32 v9, v15, v43
	v_mul_f32_e32 v13, v32, v58
	v_mul_f32_e32 v15, v31, v60
	v_fmac_f32_e32 v20, v32, v57
	v_fmac_f32_e32 v38, v31, v59
	v_mul_f32_e32 v10, v8, v54
	v_mul_f32_e32 v12, v11, v56
	v_fmamk_f32 v49, v44, 0xbf5db3d7, v27
	v_fmac_f32_e32 v18, v8, v53
	v_fmac_f32_e32 v21, v11, v55
	;; [unrolled: 1-line block ×3, first 2 shown]
	v_add_f32_e32 v51, v40, v42
	v_fma_f32 v35, v35, v57, -v13
	v_fma_f32 v32, v33, v59, -v15
	v_add_f32_e32 v13, v20, v38
	v_fma_f32 v44, v14, v53, -v10
	v_fma_f32 v19, v19, v55, -v12
	ds_write2_b32 v24, v9, v49 offset1:100
	ds_write_b32 v24, v27 offset:800
	v_add_f32_e32 v9, v18, v21
	v_add_f32_e32 v50, v4, v40
	v_sub_f32_e32 v52, v47, v45
	v_fma_f32 v10, -0.5, v51, v4
	v_add_f32_e32 v4, v5, v18
	v_add_f32_e32 v12, v28, v20
	v_sub_f32_e32 v14, v35, v32
	v_fmac_f32_e32 v28, -0.5, v13
	v_sub_f32_e32 v11, v44, v19
	v_fmac_f32_e32 v5, -0.5, v9
	v_add_f32_e32 v8, v50, v42
	v_fmamk_f32 v15, v52, 0xbf5db3d7, v10
	v_add_f32_e32 v9, v4, v21
	v_add_f32_e32 v4, v12, v38
	v_fmamk_f32 v31, v14, 0xbf5db3d7, v28
	v_fmac_f32_e32 v28, 0x3f5db3d7, v14
	v_fmac_f32_e32 v10, 0x3f5db3d7, v52
	v_fmamk_f32 v12, v11, 0xbf5db3d7, v5
	v_fmac_f32_e32 v5, 0x3f5db3d7, v11
	ds_write2_b32 v36, v8, v15 offset1:100
	ds_write_b32 v36, v10 offset:800
	ds_write2_b32 v37, v9, v12 offset1:100
	ds_write_b32 v37, v5 offset:800
	s_and_saveexec_b32 s1, s0
	s_cbranch_execz .LBB0_17
; %bb.16:
	v_lshlrev_b32_sdwa v5, v48, v34 dst_sel:DWORD dst_unused:UNUSED_PAD src0_sel:DWORD src1_sel:WORD_0
	v_add3_u32 v5, 0, v5, v1
	v_add_nc_u32_e32 v8, 0x800, v5
	ds_write2_b32 v8, v4, v31 offset0:88 offset1:188
	ds_write_b32 v5, v28 offset:3200
.LBB0_17:
	s_or_b32 exec_lo, exec_lo, s1
	v_add_nc_u32_e32 v5, 0x400, v24
	v_add_nc_u32_e32 v8, 0x600, v24
	;; [unrolled: 1-line block ×3, first 2 shown]
	s_waitcnt lgkmcnt(0)
	s_barrier
	buffer_gl0_inv
	ds_read_b32 v33, v22
	ds_read2_b32 v[10:11], v5 offset0:44 offset1:134
	ds_read2_b32 v[14:15], v8 offset0:96 offset1:216
	;; [unrolled: 1-line block ×4, first 2 shown]
	s_and_saveexec_b32 s1, s0
	s_cbranch_execz .LBB0_19
; %bb.18:
	ds_read_b32 v4, v24 offset:1080
	ds_read_b32 v31, v24 offset:2280
	;; [unrolled: 1-line block ×3, first 2 shown]
.LBB0_19:
	s_or_b32 exec_lo, exec_lo, s1
	v_add_f32_e32 v5, v46, v39
	v_sub_f32_e32 v41, v41, v43
	v_add_f32_e32 v43, v47, v45
	v_add_f32_e32 v27, v23, v46
	v_sub_f32_e32 v40, v40, v42
	v_fmac_f32_e32 v23, -0.5, v5
	v_add_f32_e32 v5, v16, v47
	v_fma_f32 v16, -0.5, v43, v16
	v_add_f32_e32 v27, v27, v39
	v_add_f32_e32 v43, v17, v44
	v_fmamk_f32 v39, v41, 0x3f5db3d7, v23
	v_fmac_f32_e32 v23, 0xbf5db3d7, v41
	v_add_f32_e32 v41, v5, v45
	v_add_f32_e32 v5, v44, v19
	v_fmamk_f32 v42, v40, 0x3f5db3d7, v16
	v_fmac_f32_e32 v16, 0xbf5db3d7, v40
	v_add_f32_e32 v40, v35, v32
	v_sub_f32_e32 v20, v20, v38
	v_fmac_f32_e32 v17, -0.5, v5
	v_sub_f32_e32 v5, v18, v21
	v_add_f32_e32 v18, v29, v35
	v_fmac_f32_e32 v29, -0.5, v40
	v_add_f32_e32 v19, v43, v19
	s_waitcnt lgkmcnt(0)
	v_fmamk_f32 v21, v5, 0x3f5db3d7, v17
	v_fmac_f32_e32 v17, 0xbf5db3d7, v5
	v_add_f32_e32 v5, v18, v32
	v_fmamk_f32 v32, v20, 0x3f5db3d7, v29
	v_fmac_f32_e32 v29, 0xbf5db3d7, v20
	s_barrier
	buffer_gl0_inv
	ds_write2_b32 v24, v27, v39 offset1:100
	ds_write_b32 v24, v23 offset:800
	ds_write2_b32 v36, v41, v42 offset1:100
	ds_write_b32 v36, v16 offset:800
	;; [unrolled: 2-line block ×3, first 2 shown]
	s_and_saveexec_b32 s1, s0
	s_cbranch_execz .LBB0_21
; %bb.20:
	v_mov_b32_e32 v16, 2
	v_lshlrev_b32_sdwa v16, v16, v34 dst_sel:DWORD dst_unused:UNUSED_PAD src0_sel:DWORD src1_sel:WORD_0
	v_add3_u32 v1, 0, v16, v1
	v_add_nc_u32_e32 v16, 0x800, v1
	ds_write2_b32 v16, v5, v32 offset0:88 offset1:188
	ds_write_b32 v1, v29 offset:3200
.LBB0_21:
	s_or_b32 exec_lo, exec_lo, s1
	v_add_nc_u32_e32 v1, 0x400, v24
	v_add_nc_u32_e32 v16, 0x600, v24
	;; [unrolled: 1-line block ×3, first 2 shown]
	s_waitcnt lgkmcnt(0)
	s_barrier
	buffer_gl0_inv
	ds_read_b32 v34, v22
	ds_read2_b32 v[18:19], v1 offset0:44 offset1:134
	ds_read2_b32 v[22:23], v16 offset0:96 offset1:216
	;; [unrolled: 1-line block ×4, first 2 shown]
	s_and_saveexec_b32 s1, s0
	s_cbranch_execz .LBB0_23
; %bb.22:
	ds_read_b32 v5, v24 offset:1080
	ds_read_b32 v32, v24 offset:2280
	;; [unrolled: 1-line block ×3, first 2 shown]
.LBB0_23:
	s_or_b32 exec_lo, exec_lo, s1
	s_and_saveexec_b32 s1, vcc_lo
	s_cbranch_execz .LBB0_26
; %bb.24:
	v_add_co_u32 v6, vcc_lo, 0x800, v6
	v_add_co_ci_u32_e32 v7, vcc_lo, 0, v7, vcc_lo
	global_load_dwordx4 v[35:38], v[6:7], off offset:272
	v_lshlrev_b32_e32 v6, 1, v25
	v_mov_b32_e32 v7, 0
	v_lshlrev_b64 v[39:40], 3, v[6:7]
	v_lshlrev_b32_e32 v6, 1, v26
	v_lshlrev_b64 v[43:44], 3, v[6:7]
	v_add_co_u32 v1, vcc_lo, s8, v39
	v_add_co_ci_u32_e32 v24, vcc_lo, s9, v40, vcc_lo
	v_add_co_u32 v26, vcc_lo, 0x800, v1
	v_add_co_ci_u32_e32 v27, vcc_lo, 0, v24, vcc_lo
	;; [unrolled: 2-line block ×3, first 2 shown]
	global_load_dwordx4 v[39:42], v[26:27], off offset:272
	v_add_co_u32 v26, vcc_lo, 0x800, v1
	v_add_co_ci_u32_e32 v27, vcc_lo, 0, v6, vcc_lo
	v_mul_hi_u32 v6, 0x1b4e81b5, v25
	v_mov_b32_e32 v1, v7
	global_load_dwordx4 v[43:46], v[26:27], off offset:272
	v_lshlrev_b64 v[24:25], 3, v[0:1]
	v_add_co_u32 v1, vcc_lo, s2, v2
	v_lshrrev_b32_e32 v6, 5, v6
	v_add_co_ci_u32_e32 v2, vcc_lo, s3, v3, vcc_lo
	v_add_co_u32 v26, vcc_lo, v1, v24
	v_mul_u32_u24_e32 v6, 0x258, v6
	v_add_co_ci_u32_e32 v27, vcc_lo, v2, v25, vcc_lo
	v_add_co_u32 v1, vcc_lo, 0x800, v26
	v_lshlrev_b64 v[47:48], 3, v[6:7]
	v_add_co_ci_u32_e32 v2, vcc_lo, 0, v27, vcc_lo
	v_add_co_u32 v24, vcc_lo, 0x1000, v26
	v_add_co_ci_u32_e32 v25, vcc_lo, 0, v27, vcc_lo
	v_add_co_u32 v47, vcc_lo, v26, v47
	;; [unrolled: 2-line block ×3, first 2 shown]
	v_add_co_ci_u32_e32 v50, vcc_lo, 0, v48, vcc_lo
	s_waitcnt vmcnt(2)
	v_mul_f32_e32 v3, v10, v36
	v_mul_f32_e32 v6, v15, v38
	s_waitcnt lgkmcnt(3)
	v_mul_f32_e32 v51, v18, v36
	s_waitcnt lgkmcnt(2)
	v_mul_f32_e32 v52, v23, v38
	v_fma_f32 v3, v18, v35, -v3
	v_fma_f32 v6, v23, v37, -v6
	v_fmac_f32_e32 v51, v10, v35
	v_fmac_f32_e32 v52, v15, v37
	v_add_co_u32 v35, vcc_lo, 0x1800, v47
	v_add_f32_e32 v10, v3, v6
	v_add_f32_e32 v18, v34, v3
	;; [unrolled: 1-line block ×3, first 2 shown]
	v_sub_f32_e32 v15, v51, v52
	v_add_f32_e32 v37, v33, v51
	v_sub_f32_e32 v3, v3, v6
	v_fma_f32 v34, -0.5, v10, v34
	v_add_f32_e32 v38, v18, v6
	v_fma_f32 v33, -0.5, v23, v33
	v_add_f32_e32 v37, v37, v52
	v_add_co_ci_u32_e32 v36, vcc_lo, 0, v48, vcc_lo
	v_fmamk_f32 v52, v15, 0xbf5db3d7, v34
	v_fmac_f32_e32 v34, 0x3f5db3d7, v15
	v_fmamk_f32 v51, v3, 0x3f5db3d7, v33
	v_fmac_f32_e32 v33, 0xbf5db3d7, v3
	s_waitcnt vmcnt(1)
	v_mul_f32_e32 v6, v14, v40
	v_mul_f32_e32 v10, v13, v42
	;; [unrolled: 1-line block ×3, first 2 shown]
	s_waitcnt lgkmcnt(0)
	v_mul_f32_e32 v23, v21, v42
	global_store_dwordx2 v[26:27], v[37:38], off
	v_fma_f32 v3, v22, v39, -v6
	v_fma_f32 v6, v21, v41, -v10
	v_fmac_f32_e32 v18, v14, v39
	v_fmac_f32_e32 v23, v13, v41
	s_waitcnt vmcnt(0)
	v_mul_f32_e32 v10, v11, v44
	v_mul_f32_e32 v13, v12, v46
	;; [unrolled: 1-line block ×4, first 2 shown]
	global_store_dwordx2 v[1:2], v[33:34], off offset:352
	global_store_dwordx2 v[24:25], v[51:52], off offset:704
	v_add_f32_e32 v33, v17, v3
	v_fma_f32 v19, v19, v43, -v10
	v_fma_f32 v20, v20, v45, -v13
	v_fmac_f32_e32 v14, v11, v43
	v_fmac_f32_e32 v15, v12, v45
	v_add_f32_e32 v21, v3, v6
	v_sub_f32_e32 v22, v18, v23
	v_add_f32_e32 v34, v18, v23
	v_add_f32_e32 v18, v9, v18
	v_sub_f32_e32 v3, v3, v6
	v_add_f32_e32 v12, v33, v6
	v_add_f32_e32 v6, v19, v20
	;; [unrolled: 1-line block ×3, first 2 shown]
	v_fma_f32 v10, -0.5, v21, v17
	v_add_f32_e32 v11, v18, v23
	v_add_f32_e32 v17, v16, v19
	v_sub_f32_e32 v23, v19, v20
	v_add_f32_e32 v19, v8, v14
	v_sub_f32_e32 v21, v14, v15
	v_fma_f32 v14, -0.5, v6, v16
	v_fma_f32 v13, -0.5, v13, v8
	;; [unrolled: 1-line block ×3, first 2 shown]
	v_add_f32_e32 v18, v17, v20
	v_add_f32_e32 v17, v19, v15
	v_fmamk_f32 v20, v21, 0xbf5db3d7, v14
	v_fmac_f32_e32 v14, 0x3f5db3d7, v21
	v_fmamk_f32 v19, v23, 0x3f5db3d7, v13
	v_fmac_f32_e32 v13, 0xbf5db3d7, v23
	;; [unrolled: 2-line block ×4, first 2 shown]
	global_store_dwordx2 v[26:27], v[17:18], off offset:720
	global_store_dwordx2 v[1:2], v[13:14], off offset:1072
	;; [unrolled: 1-line block ×6, first 2 shown]
	s_and_b32 exec_lo, exec_lo, s0
	s_cbranch_execz .LBB0_26
; %bb.25:
	v_subrev_nc_u32_e32 v0, 30, v0
	v_cndmask_b32_e64 v0, v0, v30, s0
	v_lshlrev_b32_e32 v6, 1, v0
	v_lshlrev_b64 v[6:7], 3, v[6:7]
	v_add_co_u32 v0, vcc_lo, s8, v6
	v_add_co_ci_u32_e32 v3, vcc_lo, s9, v7, vcc_lo
	v_add_co_u32 v6, vcc_lo, 0x800, v0
	v_add_co_ci_u32_e32 v7, vcc_lo, 0, v3, vcc_lo
	global_load_dwordx4 v[6:9], v[6:7], off offset:272
	s_waitcnt vmcnt(0)
	v_mul_f32_e32 v0, v32, v7
	v_mul_f32_e32 v3, v31, v7
	;; [unrolled: 1-line block ×4, first 2 shown]
	v_fmac_f32_e32 v0, v31, v6
	v_fma_f32 v3, v32, v6, -v3
	v_fmac_f32_e32 v10, v28, v8
	v_fma_f32 v9, v29, v8, -v7
	v_add_co_u32 v6, vcc_lo, 0x1800, v26
	v_add_f32_e32 v11, v4, v0
	v_add_f32_e32 v8, v0, v10
	;; [unrolled: 1-line block ×3, first 2 shown]
	v_sub_f32_e32 v13, v3, v9
	v_add_f32_e32 v3, v5, v3
	v_sub_f32_e32 v0, v0, v10
	v_fmac_f32_e32 v4, -0.5, v8
	v_fmac_f32_e32 v5, -0.5, v12
	v_add_f32_e32 v8, v11, v10
	v_add_f32_e32 v9, v3, v9
	v_add_co_ci_u32_e32 v7, vcc_lo, 0, v27, vcc_lo
	v_fmamk_f32 v10, v13, 0xbf5db3d7, v4
	v_fmamk_f32 v11, v0, 0x3f5db3d7, v5
	v_fmac_f32_e32 v4, 0x3f5db3d7, v13
	v_fmac_f32_e32 v5, 0xbf5db3d7, v0
	global_store_dwordx2 v[1:2], v[8:9], off offset:112
	global_store_dwordx2 v[24:25], v[10:11], off offset:464
	;; [unrolled: 1-line block ×3, first 2 shown]
.LBB0_26:
	s_endpgm
	.section	.rodata,"a",@progbits
	.p2align	6, 0x0
	.amdhsa_kernel fft_rtc_back_len900_factors_10_10_3_3_wgs_180_tpt_90_halfLds_sp_ip_CI_unitstride_sbrr_dirReg
		.amdhsa_group_segment_fixed_size 0
		.amdhsa_private_segment_fixed_size 0
		.amdhsa_kernarg_size 88
		.amdhsa_user_sgpr_count 6
		.amdhsa_user_sgpr_private_segment_buffer 1
		.amdhsa_user_sgpr_dispatch_ptr 0
		.amdhsa_user_sgpr_queue_ptr 0
		.amdhsa_user_sgpr_kernarg_segment_ptr 1
		.amdhsa_user_sgpr_dispatch_id 0
		.amdhsa_user_sgpr_flat_scratch_init 0
		.amdhsa_user_sgpr_private_segment_size 0
		.amdhsa_wavefront_size32 1
		.amdhsa_uses_dynamic_stack 0
		.amdhsa_system_sgpr_private_segment_wavefront_offset 0
		.amdhsa_system_sgpr_workgroup_id_x 1
		.amdhsa_system_sgpr_workgroup_id_y 0
		.amdhsa_system_sgpr_workgroup_id_z 0
		.amdhsa_system_sgpr_workgroup_info 0
		.amdhsa_system_vgpr_workitem_id 0
		.amdhsa_next_free_vgpr 61
		.amdhsa_next_free_sgpr 21
		.amdhsa_reserve_vcc 1
		.amdhsa_reserve_flat_scratch 0
		.amdhsa_float_round_mode_32 0
		.amdhsa_float_round_mode_16_64 0
		.amdhsa_float_denorm_mode_32 3
		.amdhsa_float_denorm_mode_16_64 3
		.amdhsa_dx10_clamp 1
		.amdhsa_ieee_mode 1
		.amdhsa_fp16_overflow 0
		.amdhsa_workgroup_processor_mode 1
		.amdhsa_memory_ordered 1
		.amdhsa_forward_progress 0
		.amdhsa_shared_vgpr_count 0
		.amdhsa_exception_fp_ieee_invalid_op 0
		.amdhsa_exception_fp_denorm_src 0
		.amdhsa_exception_fp_ieee_div_zero 0
		.amdhsa_exception_fp_ieee_overflow 0
		.amdhsa_exception_fp_ieee_underflow 0
		.amdhsa_exception_fp_ieee_inexact 0
		.amdhsa_exception_int_div_zero 0
	.end_amdhsa_kernel
	.text
.Lfunc_end0:
	.size	fft_rtc_back_len900_factors_10_10_3_3_wgs_180_tpt_90_halfLds_sp_ip_CI_unitstride_sbrr_dirReg, .Lfunc_end0-fft_rtc_back_len900_factors_10_10_3_3_wgs_180_tpt_90_halfLds_sp_ip_CI_unitstride_sbrr_dirReg
                                        ; -- End function
	.section	.AMDGPU.csdata,"",@progbits
; Kernel info:
; codeLenInByte = 6216
; NumSgprs: 23
; NumVgprs: 61
; ScratchSize: 0
; MemoryBound: 0
; FloatMode: 240
; IeeeMode: 1
; LDSByteSize: 0 bytes/workgroup (compile time only)
; SGPRBlocks: 2
; VGPRBlocks: 7
; NumSGPRsForWavesPerEU: 23
; NumVGPRsForWavesPerEU: 61
; Occupancy: 15
; WaveLimiterHint : 1
; COMPUTE_PGM_RSRC2:SCRATCH_EN: 0
; COMPUTE_PGM_RSRC2:USER_SGPR: 6
; COMPUTE_PGM_RSRC2:TRAP_HANDLER: 0
; COMPUTE_PGM_RSRC2:TGID_X_EN: 1
; COMPUTE_PGM_RSRC2:TGID_Y_EN: 0
; COMPUTE_PGM_RSRC2:TGID_Z_EN: 0
; COMPUTE_PGM_RSRC2:TIDIG_COMP_CNT: 0
	.text
	.p2alignl 6, 3214868480
	.fill 48, 4, 3214868480
	.type	__hip_cuid_3be0e0d83e2398ae,@object ; @__hip_cuid_3be0e0d83e2398ae
	.section	.bss,"aw",@nobits
	.globl	__hip_cuid_3be0e0d83e2398ae
__hip_cuid_3be0e0d83e2398ae:
	.byte	0                               ; 0x0
	.size	__hip_cuid_3be0e0d83e2398ae, 1

	.ident	"AMD clang version 19.0.0git (https://github.com/RadeonOpenCompute/llvm-project roc-6.4.0 25133 c7fe45cf4b819c5991fe208aaa96edf142730f1d)"
	.section	".note.GNU-stack","",@progbits
	.addrsig
	.addrsig_sym __hip_cuid_3be0e0d83e2398ae
	.amdgpu_metadata
---
amdhsa.kernels:
  - .args:
      - .actual_access:  read_only
        .address_space:  global
        .offset:         0
        .size:           8
        .value_kind:     global_buffer
      - .offset:         8
        .size:           8
        .value_kind:     by_value
      - .actual_access:  read_only
        .address_space:  global
        .offset:         16
        .size:           8
        .value_kind:     global_buffer
      - .actual_access:  read_only
        .address_space:  global
        .offset:         24
        .size:           8
        .value_kind:     global_buffer
      - .offset:         32
        .size:           8
        .value_kind:     by_value
      - .actual_access:  read_only
        .address_space:  global
        .offset:         40
        .size:           8
        .value_kind:     global_buffer
      - .actual_access:  read_only
        .address_space:  global
        .offset:         48
        .size:           8
        .value_kind:     global_buffer
      - .offset:         56
        .size:           4
        .value_kind:     by_value
      - .actual_access:  read_only
        .address_space:  global
        .offset:         64
        .size:           8
        .value_kind:     global_buffer
      - .actual_access:  read_only
        .address_space:  global
        .offset:         72
        .size:           8
        .value_kind:     global_buffer
      - .address_space:  global
        .offset:         80
        .size:           8
        .value_kind:     global_buffer
    .group_segment_fixed_size: 0
    .kernarg_segment_align: 8
    .kernarg_segment_size: 88
    .language:       OpenCL C
    .language_version:
      - 2
      - 0
    .max_flat_workgroup_size: 180
    .name:           fft_rtc_back_len900_factors_10_10_3_3_wgs_180_tpt_90_halfLds_sp_ip_CI_unitstride_sbrr_dirReg
    .private_segment_fixed_size: 0
    .sgpr_count:     23
    .sgpr_spill_count: 0
    .symbol:         fft_rtc_back_len900_factors_10_10_3_3_wgs_180_tpt_90_halfLds_sp_ip_CI_unitstride_sbrr_dirReg.kd
    .uniform_work_group_size: 1
    .uses_dynamic_stack: false
    .vgpr_count:     61
    .vgpr_spill_count: 0
    .wavefront_size: 32
    .workgroup_processor_mode: 1
amdhsa.target:   amdgcn-amd-amdhsa--gfx1030
amdhsa.version:
  - 1
  - 2
...

	.end_amdgpu_metadata
